;; amdgpu-corpus repo=ROCm/rocFFT kind=compiled arch=gfx906 opt=O3
	.text
	.amdgcn_target "amdgcn-amd-amdhsa--gfx906"
	.amdhsa_code_object_version 6
	.protected	fft_rtc_fwd_len144_factors_6_6_4_wgs_120_tpt_12_halfLds_dp_ip_CI_sbrr_dirReg ; -- Begin function fft_rtc_fwd_len144_factors_6_6_4_wgs_120_tpt_12_halfLds_dp_ip_CI_sbrr_dirReg
	.globl	fft_rtc_fwd_len144_factors_6_6_4_wgs_120_tpt_12_halfLds_dp_ip_CI_sbrr_dirReg
	.p2align	8
	.type	fft_rtc_fwd_len144_factors_6_6_4_wgs_120_tpt_12_halfLds_dp_ip_CI_sbrr_dirReg,@function
fft_rtc_fwd_len144_factors_6_6_4_wgs_120_tpt_12_halfLds_dp_ip_CI_sbrr_dirReg: ; @fft_rtc_fwd_len144_factors_6_6_4_wgs_120_tpt_12_halfLds_dp_ip_CI_sbrr_dirReg
; %bb.0:
	s_load_dwordx2 s[14:15], s[4:5], 0x18
	s_load_dwordx4 s[8:11], s[4:5], 0x0
	s_load_dwordx2 s[12:13], s[4:5], 0x50
	v_mul_u32_u24_e32 v1, 0x1556, v0
	v_lshrrev_b32_e32 v1, 16, v1
	v_mad_u64_u32 v[50:51], s[0:1], s6, 10, v[1:2]
	s_waitcnt lgkmcnt(0)
	s_load_dwordx2 s[2:3], s[14:15], 0x0
	v_mov_b32_e32 v3, 0
	v_cmp_lt_u64_e64 s[0:1], s[10:11], 2
	v_mov_b32_e32 v51, v3
	v_mov_b32_e32 v1, 0
	;; [unrolled: 1-line block ×3, first 2 shown]
	s_and_b64 vcc, exec, s[0:1]
	v_mov_b32_e32 v2, 0
	v_mov_b32_e32 v8, v51
	s_cbranch_vccnz .LBB0_8
; %bb.1:
	s_load_dwordx2 s[0:1], s[4:5], 0x10
	s_add_u32 s6, s14, 8
	s_addc_u32 s7, s15, 0
	v_mov_b32_e32 v1, 0
	v_mov_b32_e32 v5, v50
	s_waitcnt lgkmcnt(0)
	s_add_u32 s18, s0, 8
	s_mov_b64 s[16:17], 1
	v_mov_b32_e32 v2, 0
	s_addc_u32 s19, s1, 0
	v_mov_b32_e32 v6, v51
.LBB0_2:                                ; =>This Inner Loop Header: Depth=1
	s_load_dwordx2 s[20:21], s[18:19], 0x0
                                        ; implicit-def: $vgpr7_vgpr8
	s_waitcnt lgkmcnt(0)
	v_or_b32_e32 v4, s21, v6
	v_cmp_ne_u64_e32 vcc, 0, v[3:4]
	s_and_saveexec_b64 s[0:1], vcc
	s_xor_b64 s[22:23], exec, s[0:1]
	s_cbranch_execz .LBB0_4
; %bb.3:                                ;   in Loop: Header=BB0_2 Depth=1
	v_cvt_f32_u32_e32 v4, s20
	v_cvt_f32_u32_e32 v7, s21
	s_sub_u32 s0, 0, s20
	s_subb_u32 s1, 0, s21
	v_mac_f32_e32 v4, 0x4f800000, v7
	v_rcp_f32_e32 v4, v4
	v_mul_f32_e32 v4, 0x5f7ffffc, v4
	v_mul_f32_e32 v7, 0x2f800000, v4
	v_trunc_f32_e32 v7, v7
	v_mac_f32_e32 v4, 0xcf800000, v7
	v_cvt_u32_f32_e32 v7, v7
	v_cvt_u32_f32_e32 v4, v4
	v_mul_lo_u32 v8, s0, v7
	v_mul_hi_u32 v9, s0, v4
	v_mul_lo_u32 v11, s1, v4
	v_mul_lo_u32 v10, s0, v4
	v_add_u32_e32 v8, v9, v8
	v_add_u32_e32 v8, v8, v11
	v_mul_hi_u32 v9, v4, v10
	v_mul_lo_u32 v11, v4, v8
	v_mul_hi_u32 v13, v4, v8
	v_mul_hi_u32 v12, v7, v10
	v_mul_lo_u32 v10, v7, v10
	v_mul_hi_u32 v14, v7, v8
	v_add_co_u32_e32 v9, vcc, v9, v11
	v_addc_co_u32_e32 v11, vcc, 0, v13, vcc
	v_mul_lo_u32 v8, v7, v8
	v_add_co_u32_e32 v9, vcc, v9, v10
	v_addc_co_u32_e32 v9, vcc, v11, v12, vcc
	v_addc_co_u32_e32 v10, vcc, 0, v14, vcc
	v_add_co_u32_e32 v8, vcc, v9, v8
	v_addc_co_u32_e32 v9, vcc, 0, v10, vcc
	v_add_co_u32_e32 v4, vcc, v4, v8
	v_addc_co_u32_e32 v7, vcc, v7, v9, vcc
	v_mul_lo_u32 v8, s0, v7
	v_mul_hi_u32 v9, s0, v4
	v_mul_lo_u32 v10, s1, v4
	v_mul_lo_u32 v11, s0, v4
	v_add_u32_e32 v8, v9, v8
	v_add_u32_e32 v8, v8, v10
	v_mul_lo_u32 v12, v4, v8
	v_mul_hi_u32 v13, v4, v11
	v_mul_hi_u32 v14, v4, v8
	;; [unrolled: 1-line block ×3, first 2 shown]
	v_mul_lo_u32 v11, v7, v11
	v_mul_hi_u32 v9, v7, v8
	v_add_co_u32_e32 v12, vcc, v13, v12
	v_addc_co_u32_e32 v13, vcc, 0, v14, vcc
	v_mul_lo_u32 v8, v7, v8
	v_add_co_u32_e32 v11, vcc, v12, v11
	v_addc_co_u32_e32 v10, vcc, v13, v10, vcc
	v_addc_co_u32_e32 v9, vcc, 0, v9, vcc
	v_add_co_u32_e32 v8, vcc, v10, v8
	v_addc_co_u32_e32 v9, vcc, 0, v9, vcc
	v_add_co_u32_e32 v4, vcc, v4, v8
	v_addc_co_u32_e32 v9, vcc, v7, v9, vcc
	v_mad_u64_u32 v[7:8], s[0:1], v5, v9, 0
	v_mul_hi_u32 v10, v5, v4
	v_add_co_u32_e32 v11, vcc, v10, v7
	v_addc_co_u32_e32 v12, vcc, 0, v8, vcc
	v_mad_u64_u32 v[7:8], s[0:1], v6, v4, 0
	v_mad_u64_u32 v[9:10], s[0:1], v6, v9, 0
	v_add_co_u32_e32 v4, vcc, v11, v7
	v_addc_co_u32_e32 v4, vcc, v12, v8, vcc
	v_addc_co_u32_e32 v7, vcc, 0, v10, vcc
	v_add_co_u32_e32 v4, vcc, v4, v9
	v_addc_co_u32_e32 v9, vcc, 0, v7, vcc
	v_mul_lo_u32 v10, s21, v4
	v_mul_lo_u32 v11, s20, v9
	v_mad_u64_u32 v[7:8], s[0:1], s20, v4, 0
	v_add3_u32 v8, v8, v11, v10
	v_sub_u32_e32 v10, v6, v8
	v_mov_b32_e32 v11, s21
	v_sub_co_u32_e32 v7, vcc, v5, v7
	v_subb_co_u32_e64 v10, s[0:1], v10, v11, vcc
	v_subrev_co_u32_e64 v11, s[0:1], s20, v7
	v_subbrev_co_u32_e64 v10, s[0:1], 0, v10, s[0:1]
	v_cmp_le_u32_e64 s[0:1], s21, v10
	v_cndmask_b32_e64 v12, 0, -1, s[0:1]
	v_cmp_le_u32_e64 s[0:1], s20, v11
	v_cndmask_b32_e64 v11, 0, -1, s[0:1]
	v_cmp_eq_u32_e64 s[0:1], s21, v10
	v_cndmask_b32_e64 v10, v12, v11, s[0:1]
	v_add_co_u32_e64 v11, s[0:1], 2, v4
	v_addc_co_u32_e64 v12, s[0:1], 0, v9, s[0:1]
	v_add_co_u32_e64 v13, s[0:1], 1, v4
	v_addc_co_u32_e64 v14, s[0:1], 0, v9, s[0:1]
	v_subb_co_u32_e32 v8, vcc, v6, v8, vcc
	v_cmp_ne_u32_e64 s[0:1], 0, v10
	v_cmp_le_u32_e32 vcc, s21, v8
	v_cndmask_b32_e64 v10, v14, v12, s[0:1]
	v_cndmask_b32_e64 v12, 0, -1, vcc
	v_cmp_le_u32_e32 vcc, s20, v7
	v_cndmask_b32_e64 v7, 0, -1, vcc
	v_cmp_eq_u32_e32 vcc, s21, v8
	v_cndmask_b32_e32 v7, v12, v7, vcc
	v_cmp_ne_u32_e32 vcc, 0, v7
	v_cndmask_b32_e64 v7, v13, v11, s[0:1]
	v_cndmask_b32_e32 v8, v9, v10, vcc
	v_cndmask_b32_e32 v7, v4, v7, vcc
.LBB0_4:                                ;   in Loop: Header=BB0_2 Depth=1
	s_andn2_saveexec_b64 s[0:1], s[22:23]
	s_cbranch_execz .LBB0_6
; %bb.5:                                ;   in Loop: Header=BB0_2 Depth=1
	v_cvt_f32_u32_e32 v4, s20
	s_sub_i32 s22, 0, s20
	v_rcp_iflag_f32_e32 v4, v4
	v_mul_f32_e32 v4, 0x4f7ffffe, v4
	v_cvt_u32_f32_e32 v4, v4
	v_mul_lo_u32 v7, s22, v4
	v_mul_hi_u32 v7, v4, v7
	v_add_u32_e32 v4, v4, v7
	v_mul_hi_u32 v4, v5, v4
	v_mul_lo_u32 v7, v4, s20
	v_add_u32_e32 v8, 1, v4
	v_sub_u32_e32 v7, v5, v7
	v_subrev_u32_e32 v9, s20, v7
	v_cmp_le_u32_e32 vcc, s20, v7
	v_cndmask_b32_e32 v7, v7, v9, vcc
	v_cndmask_b32_e32 v4, v4, v8, vcc
	v_add_u32_e32 v8, 1, v4
	v_cmp_le_u32_e32 vcc, s20, v7
	v_cndmask_b32_e32 v7, v4, v8, vcc
	v_mov_b32_e32 v8, v3
.LBB0_6:                                ;   in Loop: Header=BB0_2 Depth=1
	s_or_b64 exec, exec, s[0:1]
	v_mul_lo_u32 v4, v8, s20
	v_mul_lo_u32 v11, v7, s21
	v_mad_u64_u32 v[9:10], s[0:1], v7, s20, 0
	s_load_dwordx2 s[0:1], s[6:7], 0x0
	s_add_u32 s16, s16, 1
	v_add3_u32 v4, v10, v11, v4
	v_sub_co_u32_e32 v5, vcc, v5, v9
	v_subb_co_u32_e32 v4, vcc, v6, v4, vcc
	s_waitcnt lgkmcnt(0)
	v_mul_lo_u32 v4, s0, v4
	v_mul_lo_u32 v6, s1, v5
	v_mad_u64_u32 v[1:2], s[0:1], s0, v5, v[1:2]
	s_addc_u32 s17, s17, 0
	s_add_u32 s6, s6, 8
	v_add3_u32 v2, v6, v2, v4
	v_mov_b32_e32 v4, s10
	v_mov_b32_e32 v5, s11
	s_addc_u32 s7, s7, 0
	v_cmp_ge_u64_e32 vcc, s[16:17], v[4:5]
	s_add_u32 s18, s18, 8
	s_addc_u32 s19, s19, 0
	s_cbranch_vccnz .LBB0_8
; %bb.7:                                ;   in Loop: Header=BB0_2 Depth=1
	v_mov_b32_e32 v5, v7
	v_mov_b32_e32 v6, v8
	s_branch .LBB0_2
.LBB0_8:
	s_lshl_b64 s[0:1], s[10:11], 3
	s_add_u32 s0, s14, s0
	s_addc_u32 s1, s15, s1
	s_load_dwordx2 s[6:7], s[0:1], 0x0
	s_load_dwordx2 s[10:11], s[4:5], 0x20
                                        ; implicit-def: $vgpr56
                                        ; implicit-def: $vgpr57
	s_waitcnt lgkmcnt(0)
	v_mad_u64_u32 v[1:2], s[0:1], s6, v7, v[1:2]
	s_mov_b32 s0, 0x15555556
	v_mul_lo_u32 v3, s6, v8
	v_mul_lo_u32 v4, s7, v7
	v_mul_hi_u32 v5, v0, s0
	v_cmp_gt_u64_e32 vcc, s[10:11], v[7:8]
	v_cmp_le_u64_e64 s[0:1], s[10:11], v[7:8]
	v_add3_u32 v2, v4, v2, v3
	v_mul_u32_u24_e32 v3, 12, v5
	v_sub_u32_e32 v52, v0, v3
	v_add_u32_e32 v53, 12, v52
	v_add_u32_e32 v51, 24, v52
	s_and_saveexec_b64 s[4:5], s[0:1]
	s_xor_b64 s[0:1], exec, s[4:5]
; %bb.9:
	v_add_u32_e32 v56, 12, v52
	v_add_u32_e32 v57, 24, v52
; %bb.10:
	s_or_saveexec_b64 s[4:5], s[0:1]
	v_lshlrev_b64 v[48:49], 4, v[1:2]
	v_or_b32_e32 v54, 48, v52
	v_add_u32_e32 v55, 36, v52
                                        ; implicit-def: $vgpr34_vgpr35
                                        ; implicit-def: $vgpr42_vgpr43
                                        ; implicit-def: $vgpr26_vgpr27
                                        ; implicit-def: $vgpr6_vgpr7
                                        ; implicit-def: $vgpr10_vgpr11
                                        ; implicit-def: $vgpr18_vgpr19
                                        ; implicit-def: $vgpr2_vgpr3
                                        ; implicit-def: $vgpr22_vgpr23
                                        ; implicit-def: $vgpr14_vgpr15
                                        ; implicit-def: $vgpr30_vgpr31
                                        ; implicit-def: $vgpr46_vgpr47
                                        ; implicit-def: $vgpr38_vgpr39
	s_xor_b64 exec, exec, s[4:5]
	s_cbranch_execz .LBB0_12
; %bb.11:
	v_mad_u64_u32 v[0:1], s[0:1], s2, v52, 0
	v_mov_b32_e32 v4, s13
	v_mad_u64_u32 v[1:2], s[0:1], s3, v52, v[1:2]
	v_mad_u64_u32 v[2:3], s[0:1], s2, v51, 0
	v_add_co_u32_e64 v8, s[0:1], s12, v48
	v_addc_co_u32_e64 v9, s[0:1], v4, v49, s[0:1]
	v_mad_u64_u32 v[3:4], s[0:1], s3, v51, v[3:4]
	v_mad_u64_u32 v[4:5], s[0:1], s2, v54, 0
	v_lshlrev_b64 v[0:1], 4, v[0:1]
	v_add_co_u32_e64 v56, s[0:1], v8, v0
	v_addc_co_u32_e64 v57, s[0:1], v9, v1, s[0:1]
	v_lshlrev_b64 v[0:1], 4, v[2:3]
	v_mov_b32_e32 v2, v5
	v_mad_u64_u32 v[2:3], s[0:1], s3, v54, v[2:3]
	v_add_u32_e32 v3, 0x48, v52
	v_mad_u64_u32 v[6:7], s[0:1], s2, v3, 0
	v_add_co_u32_e64 v58, s[0:1], v8, v0
	v_mov_b32_e32 v5, v2
	v_mov_b32_e32 v2, v7
	v_addc_co_u32_e64 v59, s[0:1], v9, v1, s[0:1]
	v_lshlrev_b64 v[0:1], 4, v[4:5]
	v_mad_u64_u32 v[2:3], s[0:1], s3, v3, v[2:3]
	v_or_b32_e32 v5, 0x60, v52
	v_mad_u64_u32 v[3:4], s[0:1], s2, v5, 0
	v_add_co_u32_e64 v60, s[0:1], v8, v0
	v_mov_b32_e32 v7, v2
	v_mov_b32_e32 v2, v4
	v_addc_co_u32_e64 v61, s[0:1], v9, v1, s[0:1]
	v_lshlrev_b64 v[0:1], 4, v[6:7]
	v_mad_u64_u32 v[4:5], s[0:1], s3, v5, v[2:3]
	v_add_u32_e32 v7, 0x78, v52
	v_mad_u64_u32 v[5:6], s[0:1], s2, v7, 0
	v_add_co_u32_e64 v62, s[0:1], v8, v0
	v_mov_b32_e32 v2, v6
	v_addc_co_u32_e64 v63, s[0:1], v9, v1, s[0:1]
	v_lshlrev_b64 v[0:1], 4, v[3:4]
	v_mad_u64_u32 v[2:3], s[0:1], s3, v7, v[2:3]
	v_mad_u64_u32 v[3:4], s[0:1], s2, v53, 0
	v_add_co_u32_e64 v64, s[0:1], v8, v0
	v_mov_b32_e32 v6, v2
	v_mov_b32_e32 v2, v4
	v_addc_co_u32_e64 v65, s[0:1], v9, v1, s[0:1]
	v_lshlrev_b64 v[0:1], 4, v[5:6]
	v_mad_u64_u32 v[4:5], s[0:1], s3, v53, v[2:3]
	v_mad_u64_u32 v[5:6], s[0:1], s2, v55, 0
	v_add_co_u32_e64 v66, s[0:1], v8, v0
	v_mov_b32_e32 v2, v6
	v_addc_co_u32_e64 v67, s[0:1], v9, v1, s[0:1]
	v_lshlrev_b64 v[0:1], 4, v[3:4]
	v_mad_u64_u32 v[2:3], s[0:1], s3, v55, v[2:3]
	v_add_u32_e32 v7, 60, v52
	v_mad_u64_u32 v[3:4], s[0:1], s2, v7, 0
	v_add_co_u32_e64 v68, s[0:1], v8, v0
	v_mov_b32_e32 v6, v2
	v_mov_b32_e32 v2, v4
	v_addc_co_u32_e64 v69, s[0:1], v9, v1, s[0:1]
	v_lshlrev_b64 v[0:1], 4, v[5:6]
	v_mad_u64_u32 v[4:5], s[0:1], s3, v7, v[2:3]
	v_add_u32_e32 v7, 0x54, v52
	v_mad_u64_u32 v[5:6], s[0:1], s2, v7, 0
	v_add_co_u32_e64 v70, s[0:1], v8, v0
	v_mov_b32_e32 v2, v6
	v_addc_co_u32_e64 v71, s[0:1], v9, v1, s[0:1]
	v_lshlrev_b64 v[0:1], 4, v[3:4]
	v_mad_u64_u32 v[2:3], s[0:1], s3, v7, v[2:3]
	v_add_u32_e32 v7, 0x6c, v52
	v_mad_u64_u32 v[3:4], s[0:1], s2, v7, 0
	v_add_co_u32_e64 v72, s[0:1], v8, v0
	v_mov_b32_e32 v6, v2
	v_mov_b32_e32 v2, v4
	v_addc_co_u32_e64 v73, s[0:1], v9, v1, s[0:1]
	v_lshlrev_b64 v[0:1], 4, v[5:6]
	v_mad_u64_u32 v[4:5], s[0:1], s3, v7, v[2:3]
	v_add_u32_e32 v7, 0x84, v52
	v_mad_u64_u32 v[5:6], s[0:1], s2, v7, 0
	v_add_co_u32_e64 v74, s[0:1], v8, v0
	v_mov_b32_e32 v2, v6
	v_addc_co_u32_e64 v75, s[0:1], v9, v1, s[0:1]
	v_lshlrev_b64 v[0:1], 4, v[3:4]
	v_mad_u64_u32 v[2:3], s[0:1], s3, v7, v[2:3]
	v_add_co_u32_e64 v76, s[0:1], v8, v0
	v_mov_b32_e32 v6, v2
	v_addc_co_u32_e64 v77, s[0:1], v9, v1, s[0:1]
	v_lshlrev_b64 v[0:1], 4, v[5:6]
	v_add_co_u32_e64 v78, s[0:1], v8, v0
	v_addc_co_u32_e64 v79, s[0:1], v9, v1, s[0:1]
	global_load_dwordx4 v[36:39], v[56:57], off
	global_load_dwordx4 v[32:35], v[58:59], off
	;; [unrolled: 1-line block ×12, first 2 shown]
	v_mov_b32_e32 v57, v51
	v_mov_b32_e32 v56, v53
.LBB0_12:
	s_or_b64 exec, exec, s[4:5]
	s_waitcnt vmcnt(6)
	v_add_f64 v[58:59], v[24:25], v[44:45]
	v_add_f64 v[68:69], v[26:27], v[46:47]
	;; [unrolled: 1-line block ×3, first 2 shown]
	v_add_f64 v[70:71], v[46:47], -v[26:27]
	v_add_f64 v[46:47], v[34:35], v[46:47]
	s_mov_b32 s4, 0xe8584caa
	s_mov_b32 s5, 0x3febb67a
	;; [unrolled: 1-line block ×3, first 2 shown]
	v_fma_f64 v[58:59], v[58:59], -0.5, v[32:33]
	v_add_f64 v[32:33], v[32:33], v[44:45]
	v_add_f64 v[44:45], v[44:45], -v[24:25]
	v_fma_f64 v[34:35], v[68:69], -0.5, v[34:35]
	s_mov_b32 s6, s4
	v_add_f64 v[62:63], v[42:43], v[30:31]
	v_add_f64 v[64:65], v[40:41], v[36:37]
	;; [unrolled: 1-line block ×3, first 2 shown]
	v_fma_f64 v[68:69], v[70:71], s[4:5], v[58:59]
	v_fma_f64 v[58:59], v[70:71], s[6:7], v[58:59]
	v_fma_f64 v[36:37], v[60:61], -0.5, v[36:37]
	v_fma_f64 v[60:61], v[44:45], s[6:7], v[34:35]
	v_fma_f64 v[34:35], v[44:45], s[4:5], v[34:35]
	v_add_f64 v[42:43], v[42:43], -v[30:31]
	v_add_f64 v[40:41], v[40:41], -v[28:29]
	v_fma_f64 v[38:39], v[62:63], -0.5, v[38:39]
	v_add_f64 v[44:45], v[30:31], v[66:67]
	v_mul_f64 v[30:31], v[58:59], -0.5
	v_mul_f64 v[62:63], v[68:69], 0.5
	v_add_f64 v[46:47], v[26:27], v[46:47]
	v_mul_f64 v[66:67], v[34:35], -0.5
	v_mul_f64 v[26:27], v[68:69], s[6:7]
	v_add_f64 v[28:29], v[28:29], v[64:65]
	v_add_f64 v[32:33], v[24:25], v[32:33]
	v_fma_f64 v[64:65], v[42:43], s[4:5], v[36:37]
	v_fma_f64 v[36:37], v[42:43], s[6:7], v[36:37]
	;; [unrolled: 1-line block ×7, first 2 shown]
	v_fma_f64 v[60:61], v[60:61], 0.5, v[26:27]
	v_add_f64 v[24:25], v[32:33], v[28:29]
	v_add_f64 v[30:31], v[28:29], -v[32:33]
	v_add_f64 v[28:29], v[36:37], v[34:35]
	v_add_f64 v[34:35], v[36:37], -v[34:35]
	;; [unrolled: 2-line block ×4, first 2 shown]
	s_waitcnt vmcnt(0)
	v_add_f64 v[58:59], v[8:9], v[0:1]
	v_add_f64 v[38:39], v[68:69], v[60:61]
	v_add_f64 v[44:45], v[68:69], -v[60:61]
	v_add_f64 v[60:61], v[4:5], v[20:21]
	v_add_f64 v[68:69], v[10:11], v[2:3]
	s_mov_b32 s0, 0xcccccccd
	v_mul_hi_u32 v72, v50, s0
	v_add_f64 v[26:27], v[64:65], v[62:63]
	v_add_f64 v[32:33], v[64:65], -v[62:63]
	v_add_f64 v[62:63], v[6:7], v[22:23]
	v_fma_f64 v[58:59], v[58:59], -0.5, v[12:13]
	v_add_f64 v[70:71], v[10:11], -v[2:3]
	v_add_f64 v[64:65], v[16:17], v[20:21]
	v_add_f64 v[20:21], v[20:21], -v[16:17]
	v_add_f64 v[16:17], v[16:17], v[60:61]
	v_lshrrev_b32_e32 v60, 3, v72
	v_mul_lo_u32 v74, v60, 10
	v_fma_f64 v[60:61], v[68:69], -0.5, v[14:15]
	v_add_f64 v[68:69], v[8:9], -v[0:1]
	v_add_f64 v[66:67], v[22:23], -v[18:19]
	v_add_f64 v[22:23], v[18:19], v[22:23]
	v_add_f64 v[62:63], v[18:19], v[62:63]
	v_fma_f64 v[18:19], v[70:71], s[4:5], v[58:59]
	v_fma_f64 v[72:73], v[70:71], s[6:7], v[58:59]
	v_fma_f64 v[4:5], v[64:65], -0.5, v[4:5]
	v_add_f64 v[8:9], v[8:9], v[12:13]
	v_fma_f64 v[12:13], v[68:69], s[4:5], v[60:61]
	v_fma_f64 v[58:59], v[68:69], s[6:7], v[60:61]
	v_add_f64 v[10:11], v[10:11], v[14:15]
	v_sub_u32_e32 v50, v50, v74
	v_mul_f64 v[60:61], v[18:19], 0.5
	v_mul_f64 v[14:15], v[72:73], -0.5
	v_fma_f64 v[64:65], v[66:67], s[4:5], v[4:5]
	v_fma_f64 v[66:67], v[66:67], s[6:7], v[4:5]
	v_fma_f64 v[4:5], v[22:23], -0.5, v[6:7]
	v_mul_f64 v[6:7], v[18:19], s[6:7]
	v_add_f64 v[0:1], v[0:1], v[8:9]
	v_mul_f64 v[8:9], v[12:13], -0.5
	v_fma_f64 v[22:23], v[58:59], s[4:5], v[60:61]
	v_fma_f64 v[18:19], v[12:13], s[4:5], v[14:15]
	v_add_f64 v[60:61], v[2:3], v[10:11]
	v_mul_u32_u24_e32 v50, 0x90, v50
	v_fma_f64 v[68:69], v[20:21], s[6:7], v[4:5]
	v_fma_f64 v[58:59], v[58:59], 0.5, v[6:7]
	v_fma_f64 v[70:71], v[20:21], s[4:5], v[4:5]
	v_fma_f64 v[72:73], v[72:73], s[6:7], v[8:9]
	v_add_f64 v[3:4], v[16:17], v[0:1]
	v_add_f64 v[5:6], v[64:65], v[22:23]
	v_add_f64 v[7:8], v[66:67], v[18:19]
	v_add_f64 v[9:10], v[16:17], -v[0:1]
	v_add_f64 v[15:16], v[64:65], -v[22:23]
	;; [unrolled: 1-line block ×3, first 2 shown]
	v_add_f64 v[11:12], v[62:63], v[60:61]
	v_add_f64 v[13:14], v[68:69], v[58:59]
	v_lshlrev_b32_e32 v2, 3, v50
	v_add_f64 v[19:20], v[70:71], v[72:73]
	v_add_f64 v[21:22], v[62:63], -v[60:61]
	v_mul_u32_u24_e32 v0, 6, v52
	v_add_u32_e32 v1, 0, v2
	v_add_f64 v[58:59], v[68:69], -v[58:59]
	v_add_f64 v[60:61], v[70:71], -v[72:73]
	v_lshl_add_u32 v23, v0, 3, v1
	v_mul_i32_i24_e32 v0, 6, v56
	ds_write_b128 v23, v[24:27]
	ds_write_b128 v23, v[28:31] offset:16
	ds_write_b128 v23, v[32:35] offset:32
	v_lshl_add_u32 v24, v0, 3, v1
	s_movk_i32 s0, 0xffd8
	v_lshl_add_u32 v26, v52, 3, v1
	v_mad_i32_i24 v28, v52, s0, v23
	v_mad_i32_i24 v29, v56, s0, v24
	ds_write_b128 v24, v[3:6]
	ds_write_b128 v24, v[7:10] offset:16
	ds_write_b128 v24, v[15:18] offset:32
	s_waitcnt lgkmcnt(0)
	s_barrier
	v_lshl_add_u32 v27, v57, 3, v1
	ds_read_b64 v[84:85], v26
	ds_read_b64 v[86:87], v27
	ds_read2_b64 v[3:6], v28 offset0:36 offset1:48
	ds_read2_b64 v[7:10], v28 offset0:60 offset1:72
	;; [unrolled: 1-line block ×4, first 2 shown]
	ds_read_b64 v[0:1], v29
	ds_read_b64 v[88:89], v28 offset:1056
	s_waitcnt lgkmcnt(0)
	s_barrier
	ds_write_b128 v23, v[36:39]
	ds_write_b128 v23, v[40:43] offset:16
	ds_write_b128 v23, v[44:47] offset:32
	ds_write_b128 v24, v[11:14]
	ds_write_b128 v24, v[19:22] offset:16
	ds_write_b128 v24, v[58:61] offset:32
	v_add_u32_e32 v11, -6, v52
	v_cmp_gt_u32_e64 s[0:1], 6, v52
	v_cndmask_b32_e64 v50, v11, v52, s[0:1]
	v_mul_i32_i24_e32 v16, 5, v50
	v_mov_b32_e32 v17, 0
	v_lshlrev_b64 v[11:12], 4, v[16:17]
	v_mov_b32_e32 v13, s9
	v_add_co_u32_e64 v15, s[0:1], s8, v11
	v_addc_co_u32_e64 v16, s[0:1], v13, v12, s[0:1]
	s_waitcnt lgkmcnt(0)
	s_barrier
	global_load_dwordx4 v[11:14], v[15:16], off offset:16
	s_movk_i32 s0, 0xab
	v_mul_lo_u16_sdwa v18, v56, s0 dst_sel:DWORD dst_unused:UNUSED_PAD src0_sel:BYTE_0 src1_sel:DWORD
	v_lshrrev_b16_e32 v94, 10, v18
	v_mul_lo_u16_e32 v18, 6, v94
	v_sub_u16_e32 v95, v56, v18
	v_mov_b32_e32 v18, 5
	v_mul_u32_u24_sdwa v18, v95, v18 dst_sel:DWORD dst_unused:UNUSED_PAD src0_sel:BYTE_0 src1_sel:DWORD
	v_lshlrev_b32_e32 v46, 4, v18
	global_load_dwordx4 v[18:21], v46, s[8:9]
	global_load_dwordx4 v[22:25], v[15:16], off offset:32
	global_load_dwordx4 v[34:37], v46, s[8:9] offset:16
	global_load_dwordx4 v[38:41], v[15:16], off offset:48
	global_load_dwordx4 v[42:45], v[15:16], off offset:64
	global_load_dwordx4 v[58:61], v[15:16], off
	global_load_dwordx4 v[66:69], v46, s[8:9] offset:32
	global_load_dwordx4 v[70:73], v46, s[8:9] offset:48
	;; [unrolled: 1-line block ×3, first 2 shown]
	ds_read2_b64 v[78:81], v28 offset0:36 offset1:48
	v_cmp_lt_u32_e64 s[0:1], 5, v52
	v_lshlrev_b32_e32 v50, 3, v50
	s_waitcnt vmcnt(9) lgkmcnt(0)
	v_mul_f64 v[46:47], v[80:81], v[13:14]
	v_mul_f64 v[82:83], v[5:6], v[13:14]
	ds_read2_b64 v[13:16], v28 offset0:60 offset1:72
	s_waitcnt vmcnt(8)
	v_mul_f64 v[90:91], v[78:79], v[20:21]
	s_waitcnt vmcnt(6) lgkmcnt(0)
	v_mul_f64 v[92:93], v[13:14], v[36:37]
	v_fma_f64 v[46:47], v[5:6], v[11:12], -v[46:47]
	v_mul_f64 v[5:6], v[3:4], v[20:21]
	v_mul_f64 v[20:21], v[15:16], v[24:25]
	v_fma_f64 v[11:12], v[80:81], v[11:12], v[82:83]
	v_mul_f64 v[24:25], v[9:10], v[24:25]
	ds_read2_b64 v[80:83], v28 offset0:84 offset1:96
	v_mul_f64 v[36:37], v[7:8], v[36:37]
	v_fma_f64 v[90:91], v[3:4], v[18:19], -v[90:91]
	v_fma_f64 v[7:8], v[7:8], v[34:35], -v[92:93]
	v_fma_f64 v[18:19], v[78:79], v[18:19], v[5:6]
	v_fma_f64 v[9:10], v[9:10], v[22:23], -v[20:21]
	s_waitcnt vmcnt(4)
	v_mul_f64 v[20:21], v[64:65], v[44:45]
	ds_read2_b64 v[3:6], v28 offset0:108 offset1:120
	s_waitcnt lgkmcnt(1)
	v_mul_f64 v[78:79], v[82:83], v[40:41]
	v_fma_f64 v[13:14], v[13:14], v[34:35], v[36:37]
	v_fma_f64 v[15:16], v[15:16], v[22:23], v[24:25]
	v_mul_f64 v[22:23], v[32:33], v[40:41]
	s_waitcnt lgkmcnt(0)
	v_mul_f64 v[34:35], v[5:6], v[44:45]
	s_waitcnt vmcnt(2)
	v_mul_f64 v[36:37], v[80:81], v[68:69]
	v_fma_f64 v[5:6], v[5:6], v[42:43], v[20:21]
	ds_read_b64 v[20:21], v27
	v_fma_f64 v[24:25], v[32:33], v[38:39], -v[78:79]
	v_mul_f64 v[32:33], v[86:87], v[60:61]
	ds_read_b64 v[40:41], v28 offset:1056
	ds_read_b64 v[44:45], v29
	ds_read_b64 v[78:79], v26
	v_fma_f64 v[22:23], v[82:83], v[38:39], v[22:23]
	s_waitcnt lgkmcnt(3)
	v_mul_f64 v[60:61], v[20:21], v[60:61]
	v_fma_f64 v[34:35], v[64:65], v[42:43], -v[34:35]
	v_mul_f64 v[38:39], v[30:31], v[68:69]
	v_fma_f64 v[30:31], v[30:31], v[66:67], -v[36:37]
	s_waitcnt vmcnt(1)
	v_mul_f64 v[42:43], v[3:4], v[72:73]
	v_mul_f64 v[64:65], v[62:63], v[72:73]
	v_fma_f64 v[20:21], v[20:21], v[58:59], v[32:33]
	v_add_f64 v[32:33], v[15:16], v[5:6]
	v_fma_f64 v[36:37], v[86:87], v[58:59], -v[60:61]
	v_add_f64 v[58:59], v[9:10], v[34:35]
	v_add_f64 v[60:61], v[9:10], -v[34:35]
	v_add_f64 v[68:69], v[15:16], -v[5:6]
	v_fma_f64 v[42:43], v[62:63], v[70:71], -v[42:43]
	s_waitcnt vmcnt(0) lgkmcnt(2)
	v_mul_f64 v[62:63], v[40:41], v[76:77]
	v_fma_f64 v[3:4], v[3:4], v[70:71], v[64:65]
	v_mul_f64 v[64:65], v[88:89], v[76:77]
	v_add_f64 v[9:10], v[36:37], v[9:10]
	v_fma_f64 v[32:33], v[32:33], -0.5, v[20:21]
	v_fma_f64 v[58:59], v[58:59], -0.5, v[36:37]
	v_fma_f64 v[38:39], v[80:81], v[66:67], v[38:39]
	v_add_f64 v[66:67], v[46:47], v[24:25]
	v_fma_f64 v[36:37], v[88:89], v[74:75], -v[62:63]
	v_add_f64 v[80:81], v[11:12], -v[22:23]
	v_fma_f64 v[40:41], v[40:41], v[74:75], v[64:65]
	v_add_f64 v[9:10], v[9:10], v[34:35]
	v_mov_b32_e32 v34, 0x120
	v_cndmask_b32_e64 v74, 0, v34, s[0:1]
	v_add_u32_e32 v74, 0, v74
	v_fma_f64 v[72:73], v[60:61], s[6:7], v[32:33]
	v_fma_f64 v[70:71], v[68:69], s[4:5], v[58:59]
	v_add3_u32 v50, v74, v50, v2
	v_add_f64 v[74:75], v[11:12], v[22:23]
	v_fma_f64 v[58:59], v[68:69], s[6:7], v[58:59]
	v_fma_f64 v[62:63], v[66:67], -0.5, v[84:85]
	v_add_f64 v[66:67], v[84:85], v[46:47]
	v_fma_f64 v[32:33], v[60:61], s[4:5], v[32:33]
	v_mul_f64 v[76:77], v[72:73], s[4:5]
	s_waitcnt lgkmcnt(0)
	v_add_f64 v[11:12], v[78:79], v[11:12]
	v_add_f64 v[15:16], v[20:21], v[15:16]
	v_fma_f64 v[60:61], v[74:75], -0.5, v[78:79]
	v_mul_f64 v[74:75], v[58:59], -0.5
	v_mul_f64 v[20:21], v[70:71], s[6:7]
	v_add_f64 v[34:35], v[66:67], v[24:25]
	v_fma_f64 v[66:67], v[80:81], s[4:5], v[62:63]
	v_fma_f64 v[64:65], v[70:71], 0.5, v[76:77]
	v_add_f64 v[24:25], v[46:47], -v[24:25]
	v_mul_f64 v[46:47], v[32:33], -0.5
	v_fma_f64 v[62:63], v[80:81], s[6:7], v[62:63]
	v_add_f64 v[11:12], v[11:12], v[22:23]
	v_fma_f64 v[22:23], v[32:33], s[4:5], v[74:75]
	v_add_f64 v[5:6], v[15:16], v[5:6]
	v_add_f64 v[68:69], v[34:35], v[9:10]
	;; [unrolled: 1-line block ×3, first 2 shown]
	v_fma_f64 v[32:33], v[24:25], s[6:7], v[60:61]
	v_fma_f64 v[24:25], v[24:25], s[4:5], v[60:61]
	v_fma_f64 v[15:16], v[72:73], 0.5, v[20:21]
	v_fma_f64 v[20:21], v[58:59], s[6:7], v[46:47]
	v_add_f64 v[46:47], v[62:63], v[22:23]
	v_add_f64 v[22:23], v[62:63], -v[22:23]
	v_add_f64 v[60:61], v[11:12], v[5:6]
	v_add_f64 v[62:63], v[11:12], -v[5:6]
	v_add_f64 v[5:6], v[38:39], v[40:41]
	v_add_f64 v[58:59], v[7:8], v[42:43]
	;; [unrolled: 1-line block ×3, first 2 shown]
	s_barrier
	ds_write2_b64 v50, v[68:69], v[76:77] offset1:6
	v_add_f64 v[68:69], v[30:31], -v[36:37]
	v_fma_f64 v[5:6], v[5:6], -0.5, v[18:19]
	v_add_f64 v[9:10], v[34:35], -v[9:10]
	v_add_f64 v[34:35], v[66:67], -v[64:65]
	v_add_f64 v[64:65], v[32:33], v[15:16]
	v_add_f64 v[32:33], v[32:33], -v[15:16]
	v_fma_f64 v[15:16], v[58:59], -0.5, v[0:1]
	v_add_f64 v[0:1], v[0:1], v[7:8]
	v_fma_f64 v[11:12], v[11:12], -0.5, v[90:91]
	v_add_f64 v[70:71], v[38:39], -v[40:41]
	v_add_f64 v[66:67], v[24:25], v[20:21]
	v_add_f64 v[58:59], v[13:14], v[3:4]
	v_add_f64 v[74:75], v[24:25], -v[20:21]
	v_fma_f64 v[24:25], v[68:69], s[6:7], v[5:6]
	v_add_f64 v[72:73], v[13:14], -v[3:4]
	v_add_f64 v[0:1], v[0:1], v[42:43]
	v_add_f64 v[7:8], v[7:8], -v[42:43]
	v_add_f64 v[13:14], v[44:45], v[13:14]
	v_fma_f64 v[42:43], v[70:71], s[6:7], v[11:12]
	v_fma_f64 v[20:21], v[58:59], -0.5, v[44:45]
	v_fma_f64 v[11:12], v[70:71], s[4:5], v[11:12]
	v_fma_f64 v[5:6], v[68:69], s[4:5], v[5:6]
	v_add_f64 v[30:31], v[90:91], v[30:31]
	v_mul_f64 v[58:59], v[24:25], s[4:5]
	v_add_f64 v[18:19], v[18:19], v[38:39]
	v_add_f64 v[3:4], v[13:14], v[3:4]
	v_mul_f64 v[13:14], v[42:43], -0.5
	v_fma_f64 v[44:45], v[72:73], s[4:5], v[15:16]
	v_mul_f64 v[38:39], v[11:12], s[6:7]
	v_mul_f64 v[68:69], v[5:6], -0.5
	v_add_f64 v[30:31], v[30:31], v[36:37]
	v_fma_f64 v[11:12], v[11:12], 0.5, v[58:59]
	v_fma_f64 v[15:16], v[72:73], s[6:7], v[15:16]
	v_fma_f64 v[36:37], v[7:8], s[6:7], v[20:21]
	;; [unrolled: 1-line block ×3, first 2 shown]
	v_add_f64 v[13:14], v[18:19], v[40:41]
	v_fma_f64 v[7:8], v[7:8], s[4:5], v[20:21]
	v_fma_f64 v[18:19], v[24:25], 0.5, v[38:39]
	v_fma_f64 v[20:21], v[42:43], s[6:7], v[68:69]
	v_add_f64 v[24:25], v[0:1], v[30:31]
	v_add_f64 v[0:1], v[0:1], -v[30:31]
	v_add_f64 v[30:31], v[44:45], v[11:12]
	v_add_f64 v[38:39], v[15:16], v[5:6]
	v_add_f64 v[11:12], v[44:45], -v[11:12]
	v_add_f64 v[5:6], v[15:16], -v[5:6]
	v_add_f64 v[40:41], v[3:4], v[13:14]
	v_add_f64 v[42:43], v[3:4], -v[13:14]
	s_movk_i32 s0, 0x120
	v_mov_b32_e32 v4, 3
	v_mad_u32_u24 v3, v94, s0, 0
	v_lshlrev_b32_sdwa v4, v4, v95 dst_sel:DWORD dst_unused:UNUSED_PAD src0_sel:DWORD src1_sel:BYTE_0
	v_add3_u32 v16, v3, v4, v2
	v_add_f64 v[44:45], v[36:37], v[18:19]
	v_add_f64 v[36:37], v[36:37], -v[18:19]
	v_add_f64 v[58:59], v[7:8], v[20:21]
	v_add_f64 v[68:69], v[7:8], -v[20:21]
	ds_write2_b64 v50, v[46:47], v[9:10] offset0:12 offset1:18
	ds_write2_b64 v50, v[34:35], v[22:23] offset0:24 offset1:30
	ds_write2_b64 v16, v[24:25], v[30:31] offset1:6
	ds_write2_b64 v16, v[38:39], v[0:1] offset0:12 offset1:18
	ds_write2_b64 v16, v[11:12], v[5:6] offset0:24 offset1:30
	s_waitcnt lgkmcnt(0)
	s_barrier
	ds_read2_b64 v[0:3], v28 offset0:36 offset1:48
	ds_read2_b64 v[12:15], v28 offset0:60 offset1:72
	;; [unrolled: 1-line block ×4, first 2 shown]
	ds_read_b64 v[22:23], v26
	ds_read_b64 v[20:21], v27
	;; [unrolled: 1-line block ×3, first 2 shown]
	ds_read_b64 v[24:25], v28 offset:1056
	s_waitcnt lgkmcnt(0)
	s_barrier
	ds_write2_b64 v50, v[60:61], v[64:65] offset1:6
	ds_write2_b64 v50, v[66:67], v[62:63] offset0:12 offset1:18
	ds_write2_b64 v50, v[32:33], v[74:75] offset0:24 offset1:30
	ds_write2_b64 v16, v[40:41], v[44:45] offset1:6
	ds_write2_b64 v16, v[58:59], v[42:43] offset0:12 offset1:18
	ds_write2_b64 v16, v[36:37], v[68:69] offset0:24 offset1:30
	s_waitcnt lgkmcnt(0)
	s_barrier
	s_and_saveexec_b64 s[0:1], vcc
	s_cbranch_execz .LBB0_14
; %bb.13:
	v_mul_i32_i24_e32 v16, 3, v57
	v_lshlrev_b64 v[30:31], 4, v[16:17]
	v_mul_u32_u24_e32 v16, 3, v52
	v_mov_b32_e32 v50, s9
	v_add_co_u32_e32 v46, vcc, s8, v30
	v_lshlrev_b32_e32 v16, 4, v16
	v_addc_co_u32_e32 v47, vcc, v50, v31, vcc
	global_load_dwordx4 v[30:33], v16, s[8:9] offset:496
	global_load_dwordx4 v[34:37], v16, s[8:9] offset:480
	;; [unrolled: 1-line block ×3, first 2 shown]
	global_load_dwordx4 v[42:45], v[46:47], off offset:512
	global_load_dwordx4 v[57:60], v[46:47], off offset:496
	;; [unrolled: 1-line block ×3, first 2 shown]
	v_mul_i32_i24_e32 v16, 3, v56
	v_lshlrev_b64 v[16:17], 4, v[16:17]
	v_mad_u64_u32 v[93:94], s[0:1], s2, v52, 0
	v_add_co_u32_e32 v16, vcc, s8, v16
	v_addc_co_u32_e32 v17, vcc, v50, v17, vcc
	global_load_dwordx4 v[65:68], v[16:17], off offset:496
	global_load_dwordx4 v[69:72], v[16:17], off offset:480
	;; [unrolled: 1-line block ×3, first 2 shown]
	ds_read2_b64 v[77:80], v28 offset0:84 offset1:96
	ds_read2_b64 v[81:84], v28 offset0:60 offset1:72
	ds_read_b64 v[16:17], v29
	ds_read2_b64 v[85:88], v28 offset0:36 offset1:48
	ds_read2_b64 v[89:92], v28 offset0:108 offset1:120
	v_mov_b32_e32 v29, v94
	v_mov_b32_e32 v50, s13
	s_movk_i32 s4, 0x6c
	s_waitcnt vmcnt(8)
	v_mad_u64_u32 v[46:47], s[0:1], s3, v52, v[29:30]
	s_waitcnt vmcnt(7) lgkmcnt(1)
	v_mul_f64 v[97:98], v[85:86], v[36:37]
	ds_read_b64 v[28:29], v28 offset:1056
	ds_read_b64 v[95:96], v27
	ds_read_b64 v[26:27], v26
	v_mov_b32_e32 v94, v46
	v_mul_f64 v[46:47], v[14:15], v[32:33]
	v_mul_f64 v[32:33], v[83:84], v[32:33]
	s_waitcnt vmcnt(6) lgkmcnt(3)
	v_mul_f64 v[99:100], v[89:90], v[40:41]
	v_mul_f64 v[36:37], v[0:1], v[36:37]
	;; [unrolled: 1-line block ×3, first 2 shown]
	s_waitcnt vmcnt(4)
	v_mul_f64 v[101:102], v[10:11], v[59:60]
	s_waitcnt vmcnt(3)
	v_mul_f64 v[103:104], v[81:82], v[63:64]
	s_waitcnt lgkmcnt(2)
	v_mul_f64 v[105:106], v[28:29], v[44:45]
	v_mul_f64 v[59:60], v[79:80], v[59:60]
	;; [unrolled: 1-line block ×4, first 2 shown]
	s_waitcnt vmcnt(2)
	v_mul_f64 v[107:108], v[8:9], v[67:68]
	s_waitcnt vmcnt(1)
	v_mul_f64 v[109:110], v[87:88], v[71:72]
	;; [unrolled: 2-line block ×3, first 2 shown]
	v_fma_f64 v[46:47], v[83:84], v[30:31], v[46:47]
	v_fma_f64 v[14:15], v[14:15], v[30:31], -v[32:33]
	v_mul_f64 v[30:31], v[77:78], v[67:68]
	v_mul_f64 v[32:33], v[2:3], v[71:72]
	v_fma_f64 v[67:68], v[0:1], v[34:35], -v[97:98]
	v_mul_f64 v[0:1], v[6:7], v[75:76]
	v_fma_f64 v[34:35], v[34:35], v[85:86], v[36:37]
	v_fma_f64 v[4:5], v[4:5], v[38:39], -v[99:100]
	v_fma_f64 v[36:37], v[38:39], v[89:90], v[40:41]
	v_fma_f64 v[38:39], v[79:80], v[57:58], v[101:102]
	v_fma_f64 v[12:13], v[12:13], v[61:62], -v[103:104]
	v_fma_f64 v[24:25], v[24:25], v[42:43], -v[105:106]
	;; [unrolled: 1-line block ×3, first 2 shown]
	v_fma_f64 v[40:41], v[61:62], v[81:82], v[63:64]
	v_fma_f64 v[28:29], v[42:43], v[28:29], v[44:45]
	;; [unrolled: 1-line block ×3, first 2 shown]
	v_fma_f64 v[44:45], v[2:3], v[69:70], -v[109:110]
	v_fma_f64 v[2:3], v[6:7], v[73:74], -v[111:112]
	;; [unrolled: 1-line block ×3, first 2 shown]
	v_fma_f64 v[30:31], v[69:70], v[87:88], v[32:33]
	v_fma_f64 v[0:1], v[73:74], v[91:92], v[0:1]
	s_waitcnt lgkmcnt(0)
	v_add_f64 v[32:33], v[26:27], -v[46:47]
	v_add_f64 v[4:5], v[67:68], -v[4:5]
	v_add_f64 v[46:47], v[22:23], -v[14:15]
	v_add_f64 v[8:9], v[34:35], -v[36:37]
	v_add_f64 v[36:37], v[95:96], -v[38:39]
	v_add_f64 v[14:15], v[12:13], -v[24:25]
	v_add_f64 v[24:25], v[20:21], -v[10:11]
	v_add_f64 v[10:11], v[40:41], -v[28:29]
	v_add_f64 v[38:39], v[16:17], -v[42:43]
	v_add_f64 v[28:29], v[44:45], -v[2:3]
	v_add_f64 v[42:43], v[18:19], -v[6:7]
	v_add_f64 v[56:57], v[30:31], -v[0:1]
	v_add_f64 v[2:3], v[32:33], v[4:5]
	v_add_f64 v[0:1], v[46:47], -v[8:9]
	v_fma_f64 v[58:59], v[26:27], 2.0, -v[32:33]
	v_fma_f64 v[26:27], v[34:35], 2.0, -v[8:9]
	;; [unrolled: 1-line block ×4, first 2 shown]
	v_add_f64 v[4:5], v[24:25], -v[10:11]
	v_fma_f64 v[34:35], v[40:41], 2.0, -v[10:11]
	v_add_f64 v[10:11], v[38:39], v[28:29]
	v_add_f64 v[8:9], v[42:43], -v[56:57]
	v_fma_f64 v[30:31], v[30:31], 2.0, -v[56:57]
	v_fma_f64 v[56:57], v[18:19], 2.0, -v[42:43]
	;; [unrolled: 1-line block ×3, first 2 shown]
	v_add_f64 v[6:7], v[36:37], v[14:15]
	v_fma_f64 v[62:63], v[95:96], 2.0, -v[36:37]
	v_fma_f64 v[66:67], v[16:17], 2.0, -v[38:39]
	v_add_f64 v[18:19], v[58:59], -v[26:27]
	v_add_f64 v[16:17], v[60:61], -v[22:23]
	v_fma_f64 v[64:65], v[12:13], 2.0, -v[14:15]
	v_fma_f64 v[14:15], v[32:33], 2.0, -v[2:3]
	v_add_f64 v[28:29], v[56:57], -v[28:29]
	v_fma_f64 v[22:23], v[36:37], 2.0, -v[6:7]
	v_add_f64 v[26:27], v[62:63], -v[34:35]
	v_fma_f64 v[34:35], v[38:39], 2.0, -v[10:11]
	v_fma_f64 v[38:39], v[58:59], 2.0, -v[18:19]
	;; [unrolled: 1-line block ×3, first 2 shown]
	v_add_co_u32_e32 v60, vcc, s12, v48
	v_fma_f64 v[44:45], v[56:57], 2.0, -v[28:29]
	v_mad_u64_u32 v[56:57], s[0:1], s2, v55, 0
	v_addc_co_u32_e32 v61, vcc, v50, v49, vcc
	v_mov_b32_e32 v50, v57
	v_mad_u64_u32 v[57:58], s[0:1], s3, v55, v[50:51]
	v_add_u32_e32 v50, 0x48, v52
	v_lshlrev_b64 v[48:49], 4, v[93:94]
	v_mad_u64_u32 v[58:59], s[0:1], s2, v50, 0
	v_fma_f64 v[12:13], v[46:47], 2.0, -v[0:1]
	v_add_co_u32_e32 v48, vcc, v60, v48
	v_addc_co_u32_e32 v49, vcc, v61, v49, vcc
	global_store_dwordx4 v[48:49], v[36:39], off
	v_add_f64 v[30:31], v[66:67], -v[30:31]
	v_mov_b32_e32 v38, v59
	v_lshlrev_b64 v[36:37], 4, v[56:57]
	v_mad_u64_u32 v[38:39], s[0:1], s3, v50, v[38:39]
	v_add_co_u32_e32 v36, vcc, v60, v36
	v_addc_co_u32_e32 v37, vcc, v61, v37, vcc
	global_store_dwordx4 v[36:37], v[12:15], off
	v_mov_b32_e32 v59, v38
	v_add_u32_e32 v36, 0x6c, v52
	v_lshlrev_b64 v[12:13], 4, v[58:59]
	v_mad_u64_u32 v[14:15], s[0:1], s2, v36, 0
	v_add_co_u32_e32 v12, vcc, v60, v12
	v_addc_co_u32_e32 v13, vcc, v61, v13, vcc
	global_store_dwordx4 v[12:13], v[16:19], off
	v_mov_b32_e32 v12, v15
	v_mad_u64_u32 v[12:13], s[0:1], s3, v36, v[12:13]
	v_mad_u64_u32 v[16:17], s[0:1], s2, v53, 0
	v_mov_b32_e32 v15, v12
	v_lshlrev_b64 v[12:13], 4, v[14:15]
	v_mov_b32_e32 v14, v17
	v_add_co_u32_e32 v12, vcc, v60, v12
	v_addc_co_u32_e32 v13, vcc, v61, v13, vcc
	v_mad_u64_u32 v[14:15], s[0:1], s3, v53, v[14:15]
	global_store_dwordx4 v[12:13], v[0:3], off
	v_fma_f64 v[46:47], v[66:67], 2.0, -v[30:31]
	v_mad_u64_u32 v[2:3], s[0:1], s2, v54, 0
	v_mov_b32_e32 v17, v14
	v_add_u32_e32 v15, 0x54, v52
	v_mad_u64_u32 v[12:13], s[0:1], s3, v54, v[3:4]
	v_lshlrev_b64 v[0:1], 4, v[16:17]
	v_mad_u64_u32 v[13:14], s[0:1], s2, v15, 0
	v_add_co_u32_e32 v0, vcc, v60, v0
	v_addc_co_u32_e32 v1, vcc, v61, v1, vcc
	v_mov_b32_e32 v3, v12
	global_store_dwordx4 v[0:1], v[44:47], off
	v_lshlrev_b64 v[0:1], 4, v[2:3]
	v_mov_b32_e32 v2, v14
	v_fma_f64 v[32:33], v[42:43], 2.0, -v[8:9]
	v_mad_u64_u32 v[2:3], s[0:1], s3, v15, v[2:3]
	v_add_u32_e32 v12, 0x78, v52
	v_add_co_u32_e32 v0, vcc, v60, v0
	v_mov_b32_e32 v14, v2
	v_mad_u64_u32 v[2:3], s[0:1], s2, v12, 0
	v_addc_co_u32_e32 v1, vcc, v61, v1, vcc
	global_store_dwordx4 v[0:1], v[32:35], off
	v_lshlrev_b64 v[0:1], 4, v[13:14]
	v_mad_u64_u32 v[12:13], s[0:1], s3, v12, v[3:4]
	s_mov_b32 s0, 0x38e38e39
	v_mul_hi_u32 v13, v51, s0
	v_fma_f64 v[40:41], v[20:21], 2.0, -v[24:25]
	v_add_co_u32_e32 v0, vcc, v60, v0
	v_addc_co_u32_e32 v1, vcc, v61, v1, vcc
	v_mov_b32_e32 v3, v12
	global_store_dwordx4 v[0:1], v[28:31], off
	v_lshlrev_b64 v[0:1], 4, v[2:3]
	v_lshrrev_b32_e32 v2, 3, v13
	v_mad_u32_u24 v15, v2, s4, v51
	v_mad_u64_u32 v[2:3], s[0:1], s2, v15, 0
	v_fma_f64 v[20:21], v[24:25], 2.0, -v[4:5]
	v_add_f64 v[24:25], v[40:41], -v[64:65]
	v_mad_u64_u32 v[12:13], s[0:1], s3, v15, v[3:4]
	v_add_u32_e32 v16, 36, v15
	v_mad_u64_u32 v[13:14], s[0:1], s2, v16, 0
	v_add_co_u32_e32 v0, vcc, v60, v0
	v_addc_co_u32_e32 v1, vcc, v61, v1, vcc
	v_mov_b32_e32 v3, v12
	global_store_dwordx4 v[0:1], v[8:11], off
	v_lshlrev_b64 v[0:1], 4, v[2:3]
	v_mov_b32_e32 v2, v14
	v_mad_u64_u32 v[2:3], s[0:1], s3, v16, v[2:3]
	v_fma_f64 v[42:43], v[62:63], 2.0, -v[26:27]
	v_fma_f64 v[40:41], v[40:41], 2.0, -v[24:25]
	v_add_u32_e32 v8, 0x48, v15
	v_mov_b32_e32 v14, v2
	v_mad_u64_u32 v[2:3], s[0:1], s2, v8, 0
	v_add_co_u32_e32 v0, vcc, v60, v0
	v_addc_co_u32_e32 v1, vcc, v61, v1, vcc
	v_mad_u64_u32 v[8:9], s[0:1], s3, v8, v[3:4]
	v_add_u32_e32 v11, 0x6c, v15
	global_store_dwordx4 v[0:1], v[40:43], off
	v_lshlrev_b64 v[0:1], 4, v[13:14]
	v_mad_u64_u32 v[9:10], s[0:1], s2, v11, 0
	v_add_co_u32_e32 v0, vcc, v60, v0
	v_addc_co_u32_e32 v1, vcc, v61, v1, vcc
	v_mov_b32_e32 v3, v8
	global_store_dwordx4 v[0:1], v[20:23], off
	v_lshlrev_b64 v[0:1], 4, v[2:3]
	v_mov_b32_e32 v2, v10
	v_mad_u64_u32 v[2:3], s[0:1], s3, v11, v[2:3]
	v_add_co_u32_e32 v0, vcc, v60, v0
	v_addc_co_u32_e32 v1, vcc, v61, v1, vcc
	v_mov_b32_e32 v10, v2
	global_store_dwordx4 v[0:1], v[24:27], off
	v_lshlrev_b64 v[0:1], 4, v[9:10]
	v_add_co_u32_e32 v0, vcc, v60, v0
	v_addc_co_u32_e32 v1, vcc, v61, v1, vcc
	global_store_dwordx4 v[0:1], v[4:7], off
.LBB0_14:
	s_endpgm
	.section	.rodata,"a",@progbits
	.p2align	6, 0x0
	.amdhsa_kernel fft_rtc_fwd_len144_factors_6_6_4_wgs_120_tpt_12_halfLds_dp_ip_CI_sbrr_dirReg
		.amdhsa_group_segment_fixed_size 0
		.amdhsa_private_segment_fixed_size 0
		.amdhsa_kernarg_size 88
		.amdhsa_user_sgpr_count 6
		.amdhsa_user_sgpr_private_segment_buffer 1
		.amdhsa_user_sgpr_dispatch_ptr 0
		.amdhsa_user_sgpr_queue_ptr 0
		.amdhsa_user_sgpr_kernarg_segment_ptr 1
		.amdhsa_user_sgpr_dispatch_id 0
		.amdhsa_user_sgpr_flat_scratch_init 0
		.amdhsa_user_sgpr_private_segment_size 0
		.amdhsa_uses_dynamic_stack 0
		.amdhsa_system_sgpr_private_segment_wavefront_offset 0
		.amdhsa_system_sgpr_workgroup_id_x 1
		.amdhsa_system_sgpr_workgroup_id_y 0
		.amdhsa_system_sgpr_workgroup_id_z 0
		.amdhsa_system_sgpr_workgroup_info 0
		.amdhsa_system_vgpr_workitem_id 0
		.amdhsa_next_free_vgpr 113
		.amdhsa_next_free_sgpr 24
		.amdhsa_reserve_vcc 1
		.amdhsa_reserve_flat_scratch 0
		.amdhsa_float_round_mode_32 0
		.amdhsa_float_round_mode_16_64 0
		.amdhsa_float_denorm_mode_32 3
		.amdhsa_float_denorm_mode_16_64 3
		.amdhsa_dx10_clamp 1
		.amdhsa_ieee_mode 1
		.amdhsa_fp16_overflow 0
		.amdhsa_exception_fp_ieee_invalid_op 0
		.amdhsa_exception_fp_denorm_src 0
		.amdhsa_exception_fp_ieee_div_zero 0
		.amdhsa_exception_fp_ieee_overflow 0
		.amdhsa_exception_fp_ieee_underflow 0
		.amdhsa_exception_fp_ieee_inexact 0
		.amdhsa_exception_int_div_zero 0
	.end_amdhsa_kernel
	.text
.Lfunc_end0:
	.size	fft_rtc_fwd_len144_factors_6_6_4_wgs_120_tpt_12_halfLds_dp_ip_CI_sbrr_dirReg, .Lfunc_end0-fft_rtc_fwd_len144_factors_6_6_4_wgs_120_tpt_12_halfLds_dp_ip_CI_sbrr_dirReg
                                        ; -- End function
	.section	.AMDGPU.csdata,"",@progbits
; Kernel info:
; codeLenInByte = 6200
; NumSgprs: 28
; NumVgprs: 113
; ScratchSize: 0
; MemoryBound: 1
; FloatMode: 240
; IeeeMode: 1
; LDSByteSize: 0 bytes/workgroup (compile time only)
; SGPRBlocks: 3
; VGPRBlocks: 28
; NumSGPRsForWavesPerEU: 28
; NumVGPRsForWavesPerEU: 113
; Occupancy: 2
; WaveLimiterHint : 1
; COMPUTE_PGM_RSRC2:SCRATCH_EN: 0
; COMPUTE_PGM_RSRC2:USER_SGPR: 6
; COMPUTE_PGM_RSRC2:TRAP_HANDLER: 0
; COMPUTE_PGM_RSRC2:TGID_X_EN: 1
; COMPUTE_PGM_RSRC2:TGID_Y_EN: 0
; COMPUTE_PGM_RSRC2:TGID_Z_EN: 0
; COMPUTE_PGM_RSRC2:TIDIG_COMP_CNT: 0
	.type	__hip_cuid_2070bce3914e956e,@object ; @__hip_cuid_2070bce3914e956e
	.section	.bss,"aw",@nobits
	.globl	__hip_cuid_2070bce3914e956e
__hip_cuid_2070bce3914e956e:
	.byte	0                               ; 0x0
	.size	__hip_cuid_2070bce3914e956e, 1

	.ident	"AMD clang version 19.0.0git (https://github.com/RadeonOpenCompute/llvm-project roc-6.4.0 25133 c7fe45cf4b819c5991fe208aaa96edf142730f1d)"
	.section	".note.GNU-stack","",@progbits
	.addrsig
	.addrsig_sym __hip_cuid_2070bce3914e956e
	.amdgpu_metadata
---
amdhsa.kernels:
  - .args:
      - .actual_access:  read_only
        .address_space:  global
        .offset:         0
        .size:           8
        .value_kind:     global_buffer
      - .offset:         8
        .size:           8
        .value_kind:     by_value
      - .actual_access:  read_only
        .address_space:  global
        .offset:         16
        .size:           8
        .value_kind:     global_buffer
      - .actual_access:  read_only
        .address_space:  global
        .offset:         24
        .size:           8
        .value_kind:     global_buffer
      - .offset:         32
        .size:           8
        .value_kind:     by_value
      - .actual_access:  read_only
        .address_space:  global
        .offset:         40
        .size:           8
        .value_kind:     global_buffer
      - .actual_access:  read_only
        .address_space:  global
        .offset:         48
        .size:           8
        .value_kind:     global_buffer
      - .offset:         56
        .size:           4
        .value_kind:     by_value
      - .actual_access:  read_only
        .address_space:  global
        .offset:         64
        .size:           8
        .value_kind:     global_buffer
      - .actual_access:  read_only
        .address_space:  global
        .offset:         72
        .size:           8
        .value_kind:     global_buffer
      - .address_space:  global
        .offset:         80
        .size:           8
        .value_kind:     global_buffer
    .group_segment_fixed_size: 0
    .kernarg_segment_align: 8
    .kernarg_segment_size: 88
    .language:       OpenCL C
    .language_version:
      - 2
      - 0
    .max_flat_workgroup_size: 120
    .name:           fft_rtc_fwd_len144_factors_6_6_4_wgs_120_tpt_12_halfLds_dp_ip_CI_sbrr_dirReg
    .private_segment_fixed_size: 0
    .sgpr_count:     28
    .sgpr_spill_count: 0
    .symbol:         fft_rtc_fwd_len144_factors_6_6_4_wgs_120_tpt_12_halfLds_dp_ip_CI_sbrr_dirReg.kd
    .uniform_work_group_size: 1
    .uses_dynamic_stack: false
    .vgpr_count:     113
    .vgpr_spill_count: 0
    .wavefront_size: 64
amdhsa.target:   amdgcn-amd-amdhsa--gfx906
amdhsa.version:
  - 1
  - 2
...

	.end_amdgpu_metadata
